;; amdgpu-corpus repo=ROCm/rocFFT kind=compiled arch=gfx1030 opt=O3
	.text
	.amdgcn_target "amdgcn-amd-amdhsa--gfx1030"
	.amdhsa_code_object_version 6
	.protected	fft_rtc_fwd_len567_factors_7_9_3_3_wgs_63_tpt_63_dp_op_CI_CI_sbrr_dirReg ; -- Begin function fft_rtc_fwd_len567_factors_7_9_3_3_wgs_63_tpt_63_dp_op_CI_CI_sbrr_dirReg
	.globl	fft_rtc_fwd_len567_factors_7_9_3_3_wgs_63_tpt_63_dp_op_CI_CI_sbrr_dirReg
	.p2align	8
	.type	fft_rtc_fwd_len567_factors_7_9_3_3_wgs_63_tpt_63_dp_op_CI_CI_sbrr_dirReg,@function
fft_rtc_fwd_len567_factors_7_9_3_3_wgs_63_tpt_63_dp_op_CI_CI_sbrr_dirReg: ; @fft_rtc_fwd_len567_factors_7_9_3_3_wgs_63_tpt_63_dp_op_CI_CI_sbrr_dirReg
; %bb.0:
	s_clause 0x2
	s_load_dwordx4 s[16:19], s[4:5], 0x18
	s_load_dwordx4 s[12:15], s[4:5], 0x0
	;; [unrolled: 1-line block ×3, first 2 shown]
	v_mul_u32_u24_e32 v1, 0x411, v0
	v_mov_b32_e32 v3, 0
	s_waitcnt lgkmcnt(0)
	s_load_dwordx2 s[20:21], s[16:17], 0x0
	s_load_dwordx2 s[2:3], s[18:19], 0x0
	v_cmp_lt_u64_e64 s0, s[14:15], 2
	v_add_nc_u32_sdwa v5, s6, v1 dst_sel:DWORD dst_unused:UNUSED_PAD src0_sel:DWORD src1_sel:WORD_1
	v_mov_b32_e32 v1, 0
	v_mov_b32_e32 v6, v3
	;; [unrolled: 1-line block ×3, first 2 shown]
	s_and_b32 vcc_lo, exec_lo, s0
	s_cbranch_vccnz .LBB0_8
; %bb.1:
	s_load_dwordx2 s[0:1], s[4:5], 0x10
	v_mov_b32_e32 v1, 0
	v_mov_b32_e32 v2, 0
	s_add_u32 s6, s18, 8
	s_addc_u32 s7, s19, 0
	s_add_u32 s22, s16, 8
	s_addc_u32 s23, s17, 0
	v_mov_b32_e32 v29, v2
	v_mov_b32_e32 v28, v1
	s_mov_b64 s[26:27], 1
	s_waitcnt lgkmcnt(0)
	s_add_u32 s24, s0, 8
	s_addc_u32 s25, s1, 0
.LBB0_2:                                ; =>This Inner Loop Header: Depth=1
	s_load_dwordx2 s[28:29], s[24:25], 0x0
                                        ; implicit-def: $vgpr30_vgpr31
	s_mov_b32 s0, exec_lo
	s_waitcnt lgkmcnt(0)
	v_or_b32_e32 v4, s29, v6
	v_cmpx_ne_u64_e32 0, v[3:4]
	s_xor_b32 s1, exec_lo, s0
	s_cbranch_execz .LBB0_4
; %bb.3:                                ;   in Loop: Header=BB0_2 Depth=1
	v_cvt_f32_u32_e32 v4, s28
	v_cvt_f32_u32_e32 v7, s29
	s_sub_u32 s0, 0, s28
	s_subb_u32 s30, 0, s29
	v_fmac_f32_e32 v4, 0x4f800000, v7
	v_rcp_f32_e32 v4, v4
	v_mul_f32_e32 v4, 0x5f7ffffc, v4
	v_mul_f32_e32 v7, 0x2f800000, v4
	v_trunc_f32_e32 v7, v7
	v_fmac_f32_e32 v4, 0xcf800000, v7
	v_cvt_u32_f32_e32 v7, v7
	v_cvt_u32_f32_e32 v4, v4
	v_mul_lo_u32 v8, s0, v7
	v_mul_hi_u32 v9, s0, v4
	v_mul_lo_u32 v10, s30, v4
	v_add_nc_u32_e32 v8, v9, v8
	v_mul_lo_u32 v9, s0, v4
	v_add_nc_u32_e32 v8, v8, v10
	v_mul_hi_u32 v10, v4, v9
	v_mul_lo_u32 v11, v4, v8
	v_mul_hi_u32 v12, v4, v8
	v_mul_hi_u32 v13, v7, v9
	v_mul_lo_u32 v9, v7, v9
	v_mul_hi_u32 v14, v7, v8
	v_mul_lo_u32 v8, v7, v8
	v_add_co_u32 v10, vcc_lo, v10, v11
	v_add_co_ci_u32_e32 v11, vcc_lo, 0, v12, vcc_lo
	v_add_co_u32 v9, vcc_lo, v10, v9
	v_add_co_ci_u32_e32 v9, vcc_lo, v11, v13, vcc_lo
	v_add_co_ci_u32_e32 v10, vcc_lo, 0, v14, vcc_lo
	v_add_co_u32 v8, vcc_lo, v9, v8
	v_add_co_ci_u32_e32 v9, vcc_lo, 0, v10, vcc_lo
	v_add_co_u32 v4, vcc_lo, v4, v8
	v_add_co_ci_u32_e32 v7, vcc_lo, v7, v9, vcc_lo
	v_mul_hi_u32 v8, s0, v4
	v_mul_lo_u32 v10, s30, v4
	v_mul_lo_u32 v9, s0, v7
	v_add_nc_u32_e32 v8, v8, v9
	v_mul_lo_u32 v9, s0, v4
	v_add_nc_u32_e32 v8, v8, v10
	v_mul_hi_u32 v10, v4, v9
	v_mul_lo_u32 v11, v4, v8
	v_mul_hi_u32 v12, v4, v8
	v_mul_hi_u32 v13, v7, v9
	v_mul_lo_u32 v9, v7, v9
	v_mul_hi_u32 v14, v7, v8
	v_mul_lo_u32 v8, v7, v8
	v_add_co_u32 v10, vcc_lo, v10, v11
	v_add_co_ci_u32_e32 v11, vcc_lo, 0, v12, vcc_lo
	v_add_co_u32 v9, vcc_lo, v10, v9
	v_add_co_ci_u32_e32 v9, vcc_lo, v11, v13, vcc_lo
	v_add_co_ci_u32_e32 v10, vcc_lo, 0, v14, vcc_lo
	v_add_co_u32 v8, vcc_lo, v9, v8
	v_add_co_ci_u32_e32 v9, vcc_lo, 0, v10, vcc_lo
	v_add_co_u32 v4, vcc_lo, v4, v8
	v_add_co_ci_u32_e32 v11, vcc_lo, v7, v9, vcc_lo
	v_mul_hi_u32 v13, v5, v4
	v_mad_u64_u32 v[9:10], null, v6, v4, 0
	v_mad_u64_u32 v[7:8], null, v5, v11, 0
	v_mad_u64_u32 v[11:12], null, v6, v11, 0
	v_add_co_u32 v4, vcc_lo, v13, v7
	v_add_co_ci_u32_e32 v7, vcc_lo, 0, v8, vcc_lo
	v_add_co_u32 v4, vcc_lo, v4, v9
	v_add_co_ci_u32_e32 v4, vcc_lo, v7, v10, vcc_lo
	v_add_co_ci_u32_e32 v7, vcc_lo, 0, v12, vcc_lo
	v_add_co_u32 v4, vcc_lo, v4, v11
	v_add_co_ci_u32_e32 v9, vcc_lo, 0, v7, vcc_lo
	v_mul_lo_u32 v10, s29, v4
	v_mad_u64_u32 v[7:8], null, s28, v4, 0
	v_mul_lo_u32 v11, s28, v9
	v_sub_co_u32 v7, vcc_lo, v5, v7
	v_add3_u32 v8, v8, v11, v10
	v_sub_nc_u32_e32 v10, v6, v8
	v_subrev_co_ci_u32_e64 v10, s0, s29, v10, vcc_lo
	v_add_co_u32 v11, s0, v4, 2
	v_add_co_ci_u32_e64 v12, s0, 0, v9, s0
	v_sub_co_u32 v13, s0, v7, s28
	v_sub_co_ci_u32_e32 v8, vcc_lo, v6, v8, vcc_lo
	v_subrev_co_ci_u32_e64 v10, s0, 0, v10, s0
	v_cmp_le_u32_e32 vcc_lo, s28, v13
	v_cmp_eq_u32_e64 s0, s29, v8
	v_cndmask_b32_e64 v13, 0, -1, vcc_lo
	v_cmp_le_u32_e32 vcc_lo, s29, v10
	v_cndmask_b32_e64 v14, 0, -1, vcc_lo
	v_cmp_le_u32_e32 vcc_lo, s28, v7
	;; [unrolled: 2-line block ×3, first 2 shown]
	v_cndmask_b32_e64 v15, 0, -1, vcc_lo
	v_cmp_eq_u32_e32 vcc_lo, s29, v10
	v_cndmask_b32_e64 v7, v15, v7, s0
	v_cndmask_b32_e32 v10, v14, v13, vcc_lo
	v_add_co_u32 v13, vcc_lo, v4, 1
	v_add_co_ci_u32_e32 v14, vcc_lo, 0, v9, vcc_lo
	v_cmp_ne_u32_e32 vcc_lo, 0, v10
	v_cndmask_b32_e32 v8, v14, v12, vcc_lo
	v_cndmask_b32_e32 v10, v13, v11, vcc_lo
	v_cmp_ne_u32_e32 vcc_lo, 0, v7
	v_cndmask_b32_e32 v31, v9, v8, vcc_lo
	v_cndmask_b32_e32 v30, v4, v10, vcc_lo
.LBB0_4:                                ;   in Loop: Header=BB0_2 Depth=1
	s_andn2_saveexec_b32 s0, s1
	s_cbranch_execz .LBB0_6
; %bb.5:                                ;   in Loop: Header=BB0_2 Depth=1
	v_cvt_f32_u32_e32 v4, s28
	s_sub_i32 s1, 0, s28
	v_mov_b32_e32 v31, v3
	v_rcp_iflag_f32_e32 v4, v4
	v_mul_f32_e32 v4, 0x4f7ffffe, v4
	v_cvt_u32_f32_e32 v4, v4
	v_mul_lo_u32 v7, s1, v4
	v_mul_hi_u32 v7, v4, v7
	v_add_nc_u32_e32 v4, v4, v7
	v_mul_hi_u32 v4, v5, v4
	v_mul_lo_u32 v7, v4, s28
	v_add_nc_u32_e32 v8, 1, v4
	v_sub_nc_u32_e32 v7, v5, v7
	v_subrev_nc_u32_e32 v9, s28, v7
	v_cmp_le_u32_e32 vcc_lo, s28, v7
	v_cndmask_b32_e32 v7, v7, v9, vcc_lo
	v_cndmask_b32_e32 v4, v4, v8, vcc_lo
	v_cmp_le_u32_e32 vcc_lo, s28, v7
	v_add_nc_u32_e32 v8, 1, v4
	v_cndmask_b32_e32 v30, v4, v8, vcc_lo
.LBB0_6:                                ;   in Loop: Header=BB0_2 Depth=1
	s_or_b32 exec_lo, exec_lo, s0
	v_mul_lo_u32 v4, v31, s28
	v_mul_lo_u32 v9, v30, s29
	s_load_dwordx2 s[0:1], s[22:23], 0x0
	v_mad_u64_u32 v[7:8], null, v30, s28, 0
	s_load_dwordx2 s[28:29], s[6:7], 0x0
	s_add_u32 s26, s26, 1
	s_addc_u32 s27, s27, 0
	s_add_u32 s6, s6, 8
	s_addc_u32 s7, s7, 0
	s_add_u32 s22, s22, 8
	v_add3_u32 v4, v8, v9, v4
	v_sub_co_u32 v5, vcc_lo, v5, v7
	s_addc_u32 s23, s23, 0
	s_add_u32 s24, s24, 8
	v_sub_co_ci_u32_e32 v4, vcc_lo, v6, v4, vcc_lo
	s_addc_u32 s25, s25, 0
	s_waitcnt lgkmcnt(0)
	v_mul_lo_u32 v6, s0, v4
	v_mul_lo_u32 v7, s1, v5
	v_mad_u64_u32 v[1:2], null, s0, v5, v[1:2]
	v_mul_lo_u32 v4, s28, v4
	v_mul_lo_u32 v8, s29, v5
	v_mad_u64_u32 v[28:29], null, s28, v5, v[28:29]
	v_cmp_ge_u64_e64 s0, s[26:27], s[14:15]
	v_add3_u32 v2, v7, v2, v6
	v_add3_u32 v29, v8, v29, v4
	s_and_b32 vcc_lo, exec_lo, s0
	s_cbranch_vccnz .LBB0_9
; %bb.7:                                ;   in Loop: Header=BB0_2 Depth=1
	v_mov_b32_e32 v5, v30
	v_mov_b32_e32 v6, v31
	s_branch .LBB0_2
.LBB0_8:
	v_mov_b32_e32 v29, v2
	v_mov_b32_e32 v31, v6
	;; [unrolled: 1-line block ×4, first 2 shown]
.LBB0_9:
	s_load_dwordx2 s[0:1], s[4:5], 0x28
	v_mul_hi_u32 v3, 0x4104105, v0
	s_lshl_b64 s[6:7], s[14:15], 3
                                        ; implicit-def: $vgpr32
                                        ; implicit-def: $vgpr34
	s_add_u32 s4, s18, s6
	s_addc_u32 s5, s19, s7
	s_waitcnt lgkmcnt(0)
	v_cmp_gt_u64_e32 vcc_lo, s[0:1], v[30:31]
	v_cmp_le_u64_e64 s0, s[0:1], v[30:31]
	s_and_saveexec_b32 s1, s0
	s_xor_b32 s0, exec_lo, s1
; %bb.10:
	v_mul_u32_u24_e32 v1, 63, v3
                                        ; implicit-def: $vgpr3
	v_sub_nc_u32_e32 v32, v0, v1
                                        ; implicit-def: $vgpr0
                                        ; implicit-def: $vgpr1_vgpr2
	v_add_nc_u32_e32 v34, 63, v32
; %bb.11:
	s_andn2_saveexec_b32 s1, s0
	s_cbranch_execz .LBB0_13
; %bb.12:
	s_add_u32 s6, s16, s6
	s_addc_u32 s7, s17, s7
	v_mul_u32_u24_e32 v3, 63, v3
	s_load_dwordx2 s[6:7], s[6:7], 0x0
	v_lshlrev_b64 v[1:2], 4, v[1:2]
	v_sub_nc_u32_e32 v32, v0, v3
	v_mad_u64_u32 v[3:4], null, s20, v32, 0
	v_add_nc_u32_e32 v34, 63, v32
	v_add_nc_u32_e32 v16, 0x7e, v32
	;; [unrolled: 1-line block ×5, first 2 shown]
	v_mad_u64_u32 v[5:6], null, s20, v34, 0
	v_mov_b32_e32 v0, v4
	v_mad_u64_u32 v[7:8], null, s20, v16, 0
	s_waitcnt lgkmcnt(0)
	v_mul_lo_u32 v4, s7, v30
	v_mul_lo_u32 v15, s6, v31
	v_mad_u64_u32 v[11:12], null, s6, v30, 0
	v_mad_u64_u32 v[9:10], null, s20, v17, 0
	;; [unrolled: 1-line block ×3, first 2 shown]
	v_mov_b32_e32 v0, v6
	v_mov_b32_e32 v6, v8
	v_add3_u32 v12, v12, v15, v4
	v_add_nc_u32_e32 v26, 0x17a, v32
	v_mov_b32_e32 v8, v10
	v_mad_u64_u32 v[14:15], null, s21, v34, v[0:1]
	v_lshlrev_b64 v[10:11], 4, v[11:12]
	v_mad_u64_u32 v[15:16], null, s21, v16, v[6:7]
	v_mov_b32_e32 v4, v13
	v_mad_u64_u32 v[12:13], null, s21, v17, v[8:9]
	v_add_co_u32 v0, s0, s8, v10
	v_mov_b32_e32 v6, v14
	v_add_co_ci_u32_e64 v10, s0, s9, v11, s0
	v_lshlrev_b64 v[3:4], 4, v[3:4]
	v_mov_b32_e32 v8, v15
	v_add_co_u32 v33, s0, v0, v1
	v_mad_u64_u32 v[16:17], null, s20, v18, 0
	v_add_co_ci_u32_e64 v40, s0, v10, v2, s0
	v_lshlrev_b64 v[0:1], 4, v[5:6]
	v_mov_b32_e32 v10, v12
	v_add_co_u32 v2, s0, v33, v3
	v_lshlrev_b64 v[13:14], 4, v[7:8]
	v_add_co_ci_u32_e64 v3, s0, v40, v4, s0
	v_lshlrev_b64 v[9:10], 4, v[9:10]
	v_add_co_u32 v4, s0, v33, v0
	v_mov_b32_e32 v8, v17
	v_add_co_ci_u32_e64 v5, s0, v40, v1, s0
	v_add_co_u32 v11, s0, v33, v13
	v_add_co_ci_u32_e64 v12, s0, v40, v14, s0
	v_mad_u64_u32 v[13:14], null, s21, v18, v[8:9]
	v_mad_u64_u32 v[18:19], null, s20, v24, 0
	;; [unrolled: 1-line block ×3, first 2 shown]
	v_add_co_u32 v14, s0, v33, v9
	v_add_nc_u32_e32 v35, 0x1b9, v32
	v_add_nc_u32_e32 v36, 0x1f8, v32
	v_mov_b32_e32 v8, v19
	v_mov_b32_e32 v17, v13
	;; [unrolled: 1-line block ×3, first 2 shown]
	v_mad_u64_u32 v[22:23], null, s20, v35, 0
	v_add_co_ci_u32_e64 v15, s0, v40, v10, s0
	v_mad_u64_u32 v[24:25], null, s21, v24, v[8:9]
	v_mad_u64_u32 v[25:26], null, s21, v26, v[9:10]
	;; [unrolled: 1-line block ×3, first 2 shown]
	v_lshlrev_b64 v[16:17], 4, v[16:17]
	s_clause 0x1
	global_load_dwordx4 v[0:3], v[2:3], off
	global_load_dwordx4 v[4:7], v[4:5], off
	v_mov_b32_e32 v19, v24
	v_mad_u64_u32 v[23:24], null, s21, v35, v[23:24]
	v_mov_b32_e32 v21, v25
	v_mov_b32_e32 v24, v27
	v_lshlrev_b64 v[18:19], 4, v[18:19]
	v_add_co_u32 v16, s0, v33, v16
	v_lshlrev_b64 v[20:21], 4, v[20:21]
	v_mad_u64_u32 v[24:25], null, s21, v36, v[24:25]
	v_add_co_ci_u32_e64 v17, s0, v40, v17, s0
	v_add_co_u32 v35, s0, v33, v18
	v_add_co_ci_u32_e64 v36, s0, v40, v19, s0
	v_mov_b32_e32 v27, v24
	v_lshlrev_b64 v[18:19], 4, v[22:23]
	v_add_co_u32 v24, s0, v33, v20
	v_add_co_ci_u32_e64 v25, s0, v40, v21, s0
	v_lshlrev_b64 v[20:21], 4, v[26:27]
	v_add_co_u32 v37, s0, v33, v18
	v_add_co_ci_u32_e64 v38, s0, v40, v19, s0
	s_clause 0x1
	global_load_dwordx4 v[8:11], v[11:12], off
	global_load_dwordx4 v[12:15], v[14:15], off
	v_add_co_u32 v39, s0, v33, v20
	v_add_co_ci_u32_e64 v40, s0, v40, v21, s0
	s_clause 0x4
	global_load_dwordx4 v[16:19], v[16:17], off
	global_load_dwordx4 v[20:23], v[35:36], off
	;; [unrolled: 1-line block ×5, first 2 shown]
	v_lshl_add_u32 v33, v32, 4, 0
	s_waitcnt vmcnt(8)
	ds_write_b128 v33, v[0:3]
	s_waitcnt vmcnt(7)
	ds_write_b128 v33, v[4:7] offset:1008
	s_waitcnt vmcnt(6)
	ds_write_b128 v33, v[8:11] offset:2016
	;; [unrolled: 2-line block ×8, first 2 shown]
.LBB0_13:
	s_or_b32 exec_lo, exec_lo, s1
	v_lshl_add_u32 v33, v32, 4, 0
	s_load_dwordx2 s[4:5], s[4:5], 0x0
	s_waitcnt lgkmcnt(0)
	s_barrier
	buffer_gl0_inv
	ds_read_b128 v[24:27], v33 offset:7776
	ds_read_b128 v[35:38], v33 offset:1296
	;; [unrolled: 1-line block ×12, first 2 shown]
	s_mov_b32 s6, 0x36b3c0b5
	s_mov_b32 s8, 0xe976ee23
	;; [unrolled: 1-line block ×10, first 2 shown]
	s_waitcnt lgkmcnt(10)
	v_add_f64 v[55:56], v[35:36], v[24:25]
	v_add_f64 v[57:58], v[37:38], v[26:27]
	s_waitcnt lgkmcnt(8)
	v_add_f64 v[59:60], v[39:40], v[43:44]
	v_add_f64 v[61:62], v[41:42], v[45:46]
	v_add_f64 v[39:40], v[39:40], -v[43:44]
	v_add_f64 v[41:42], v[41:42], -v[45:46]
	s_mov_b32 s22, 0xb247c609
	s_waitcnt lgkmcnt(3)
	v_add_f64 v[43:44], v[51:52], v[47:48]
	v_add_f64 v[45:46], v[53:54], v[49:50]
	v_add_f64 v[47:48], v[47:48], -v[51:52]
	v_add_f64 v[49:50], v[49:50], -v[53:54]
	v_add_f64 v[51:52], v[35:36], -v[24:25]
	v_add_f64 v[53:54], v[37:38], -v[26:27]
	ds_read_b128 v[35:38], v33
	s_mov_b32 s17, 0xbff2aaaa
	s_mov_b32 s19, 0x3fe77f67
	;; [unrolled: 1-line block ×9, first 2 shown]
	s_mov_b32 s1, exec_lo
	v_add_f64 v[24:25], v[59:60], v[55:56]
	v_add_f64 v[26:27], v[61:62], v[57:58]
	v_add_f64 v[63:64], v[43:44], -v[59:60]
	v_add_f64 v[65:66], v[45:46], -v[61:62]
	;; [unrolled: 1-line block ×6, first 2 shown]
	v_add_f64 v[75:76], v[43:44], v[24:25]
	v_add_f64 v[77:78], v[45:46], v[26:27]
	ds_read_b128 v[24:27], v33 offset:1008
	v_add_f64 v[43:44], v[55:56], -v[43:44]
	v_add_f64 v[45:46], v[57:58], -v[45:46]
	;; [unrolled: 1-line block ×4, first 2 shown]
	v_add_f64 v[59:60], v[47:48], v[39:40]
	v_add_f64 v[61:62], v[49:50], v[41:42]
	v_add_f64 v[47:48], v[51:52], -v[47:48]
	v_add_f64 v[49:50], v[53:54], -v[49:50]
	v_mul_f64 v[79:80], v[63:64], s[6:7]
	v_mul_f64 v[81:82], v[65:66], s[6:7]
	;; [unrolled: 1-line block ×6, first 2 shown]
	s_waitcnt lgkmcnt(0)
	s_barrier
	buffer_gl0_inv
	v_add_f64 v[39:40], v[35:36], v[75:76]
	v_add_f64 v[41:42], v[37:38], v[77:78]
	v_mul_f64 v[35:36], v[43:44], s[26:27]
	v_mul_f64 v[37:38], v[45:46], s[26:27]
	v_add_f64 v[43:44], v[59:60], v[51:52]
	v_add_f64 v[45:46], v[61:62], v[53:54]
	v_fma_f64 v[51:52], v[55:56], s[18:19], -v[79:80]
	v_fma_f64 v[53:54], v[57:58], s[18:19], -v[81:82]
	v_fma_f64 v[59:60], v[71:72], s[14:15], -v[67:68]
	v_fma_f64 v[61:62], v[73:74], s[14:15], -v[69:70]
	v_fma_f64 v[71:72], v[47:48], s[24:25], -v[83:84]
	v_fma_f64 v[73:74], v[49:50], s[24:25], -v[85:86]
	v_fma_f64 v[47:48], v[47:48], s[22:23], v[67:68]
	v_fma_f64 v[49:50], v[49:50], s[22:23], v[69:70]
	;; [unrolled: 1-line block ×4, first 2 shown]
	v_fma_f64 v[55:56], v[55:56], s[20:21], -v[35:36]
	v_fma_f64 v[35:36], v[63:64], s[6:7], v[35:36]
	v_fma_f64 v[63:64], v[65:66], s[6:7], v[37:38]
	v_fma_f64 v[37:38], v[57:58], s[20:21], -v[37:38]
	v_fma_f64 v[57:58], v[43:44], s[28:29], v[59:60]
	v_fma_f64 v[59:60], v[45:46], s[28:29], v[61:62]
	;; [unrolled: 1-line block ×6, first 2 shown]
	v_add_f64 v[51:52], v[51:52], v[75:76]
	v_add_f64 v[53:54], v[53:54], v[77:78]
	;; [unrolled: 1-line block ×6, first 2 shown]
	v_add_f64 v[43:44], v[51:52], -v[59:60]
	v_add_f64 v[45:46], v[57:58], v[53:54]
	v_add_f64 v[49:50], v[53:54], -v[57:58]
	v_add_f64 v[47:48], v[51:52], v[59:60]
	v_add_f64 v[55:56], v[35:36], v[69:70]
	v_add_f64 v[57:58], v[73:74], -v[67:68]
	v_add_f64 v[51:52], v[71:72], v[65:66]
	v_add_f64 v[53:54], v[37:38], -v[61:62]
	v_add_f64 v[59:60], v[71:72], -v[65:66]
	v_add_f64 v[61:62], v[61:62], v[37:38]
	v_add_f64 v[63:64], v[35:36], -v[69:70]
	v_add_f64 v[65:66], v[67:68], v[73:74]
	v_mad_u32_u24 v35, 0x60, v32, v33
	ds_write_b128 v35, v[39:42]
	ds_write_b128 v35, v[55:58] offset:16
	ds_write_b128 v35, v[51:54] offset:32
	ds_write_b128 v35, v[43:46] offset:48
	ds_write_b128 v35, v[47:50] offset:64
	ds_write_b128 v35, v[59:62] offset:80
	ds_write_b128 v35, v[63:66] offset:96
	v_cmpx_gt_u32_e32 18, v32
	s_cbranch_execz .LBB0_15
; %bb.14:
	v_add_f64 v[36:37], v[2:3], v[14:15]
	v_add_f64 v[38:39], v[6:7], v[10:11]
	v_add_f64 v[40:41], v[0:1], v[12:13]
	v_add_f64 v[42:43], v[4:5], v[8:9]
	v_add_f64 v[44:45], v[20:21], -v[16:17]
	v_add_f64 v[4:5], v[4:5], -v[8:9]
	v_add_f64 v[8:9], v[18:19], v[22:23]
	v_add_f64 v[16:17], v[16:17], v[20:21]
	v_add_f64 v[12:13], v[0:1], -v[12:13]
	v_add_f64 v[18:19], v[22:23], -v[18:19]
	;; [unrolled: 1-line block ×4, first 2 shown]
	v_add_f64 v[0:1], v[38:39], v[36:37]
	v_add_f64 v[2:3], v[42:43], v[40:41]
	v_add_f64 v[14:15], v[44:45], -v[4:5]
	v_add_f64 v[20:21], v[36:37], -v[8:9]
	;; [unrolled: 1-line block ×5, first 2 shown]
	v_add_f64 v[4:5], v[44:45], v[4:5]
	v_add_f64 v[50:51], v[6:7], -v[10:11]
	v_add_f64 v[48:49], v[8:9], v[0:1]
	v_add_f64 v[8:9], v[8:9], -v[38:39]
	v_add_f64 v[0:1], v[18:19], -v[6:7]
	v_add_f64 v[52:53], v[16:17], v[2:3]
	v_add_f64 v[16:17], v[16:17], -v[42:43]
	v_add_f64 v[6:7], v[18:19], v[6:7]
	v_mul_f64 v[14:15], v[14:15], s[8:9]
	v_mul_f64 v[20:21], v[20:21], s[26:27]
	;; [unrolled: 1-line block ×4, first 2 shown]
	v_add_f64 v[18:19], v[10:11], -v[18:19]
	v_mul_f64 v[56:57], v[50:51], s[14:15]
	v_add_f64 v[4:5], v[4:5], v[12:13]
	v_add_f64 v[2:3], v[26:27], v[48:49]
	v_add_f64 v[26:27], v[38:39], -v[36:37]
	v_mul_f64 v[36:37], v[8:9], s[6:7]
	v_mul_f64 v[38:39], v[0:1], s[8:9]
	v_add_f64 v[0:1], v[24:25], v[52:53]
	v_add_f64 v[24:25], v[42:43], -v[40:41]
	v_mul_f64 v[40:41], v[16:17], s[6:7]
	v_add_f64 v[6:7], v[6:7], v[10:11]
	v_fma_f64 v[10:11], v[54:55], s[22:23], v[14:15]
	v_fma_f64 v[8:9], v[8:9], s[6:7], v[20:21]
	;; [unrolled: 1-line block ×3, first 2 shown]
	v_fma_f64 v[16:17], v[54:55], s[24:25], -v[44:45]
	v_fma_f64 v[14:15], v[46:47], s[14:15], -v[14:15]
	v_fma_f64 v[42:43], v[48:49], s[16:17], v[2:3]
	v_fma_f64 v[20:21], v[26:27], s[20:21], -v[20:21]
	v_fma_f64 v[26:27], v[26:27], s[18:19], -v[36:37]
	v_fma_f64 v[36:37], v[18:19], s[22:23], v[38:39]
	v_fma_f64 v[44:45], v[52:53], s[16:17], v[0:1]
	v_fma_f64 v[18:19], v[18:19], s[24:25], -v[56:57]
	v_fma_f64 v[22:23], v[24:25], s[20:21], -v[22:23]
	;; [unrolled: 1-line block ×4, first 2 shown]
	v_fma_f64 v[40:41], v[4:5], s[28:29], v[10:11]
	v_fma_f64 v[16:17], v[4:5], s[28:29], v[16:17]
	;; [unrolled: 1-line block ×3, first 2 shown]
	v_add_f64 v[8:9], v[8:9], v[42:43]
	v_add_f64 v[20:21], v[20:21], v[42:43]
	;; [unrolled: 1-line block ×3, first 2 shown]
	v_fma_f64 v[36:37], v[6:7], s[28:29], v[36:37]
	v_add_f64 v[46:47], v[12:13], v[44:45]
	v_fma_f64 v[42:43], v[6:7], s[28:29], v[18:19]
	v_add_f64 v[48:49], v[22:23], v[44:45]
	;; [unrolled: 2-line block ×3, first 2 shown]
	v_add_f64 v[6:7], v[40:41], v[8:9]
	v_add_f64 v[10:11], v[16:17], v[20:21]
	v_add_f64 v[14:15], v[26:27], -v[4:5]
	v_add_f64 v[18:19], v[4:5], v[26:27]
	v_add_f64 v[26:27], v[8:9], -v[40:41]
	v_add_f64 v[24:25], v[46:47], v[36:37]
	v_add_f64 v[22:23], v[20:21], -v[16:17]
	v_add_f64 v[20:21], v[48:49], v[42:43]
	v_add_f64 v[16:17], v[12:13], -v[38:39]
	v_add_f64 v[12:13], v[12:13], v[38:39]
	v_add_f64 v[8:9], v[48:49], -v[42:43]
	v_add_f64 v[4:5], v[46:47], -v[36:37]
	v_mad_i32_i24 v36, 0x70, v34, 0
	ds_write_b128 v36, v[0:3]
	ds_write_b128 v36, v[24:27] offset:16
	ds_write_b128 v36, v[20:23] offset:32
	;; [unrolled: 1-line block ×6, first 2 shown]
.LBB0_15:
	s_or_b32 exec_lo, exec_lo, s1
	v_and_b32_e32 v0, 0xff, v32
	s_waitcnt lgkmcnt(0)
	s_barrier
	buffer_gl0_inv
	v_lshl_add_u32 v13, v34, 4, 0
	v_mul_lo_u16 v0, v0, 37
	v_mad_i32_i24 v12, 0xffffffa0, v32, v35
	s_mov_b32 s8, 0xa2cf5039
	s_mov_b32 s9, 0x3fe8836f
	s_mov_b32 s14, 0x8c811c17
	v_lshrrev_b16 v0, 8, v0
	s_mov_b32 s1, 0x3fe491b7
	s_mov_b32 s0, 0x523c161c
	;; [unrolled: 1-line block ×4, first 2 shown]
	v_sub_nc_u16 v1, v32, v0
	s_mov_b32 s17, 0x3fc63a1a
	s_mov_b32 s7, 0x3febb67a
	;; [unrolled: 1-line block ×3, first 2 shown]
	v_add_nc_u32_e32 v96, 0x7e, v32
	v_lshrrev_b16 v1, 1, v1
	v_and_b32_e32 v1, 0x7f, v1
	v_add_nc_u16 v0, v1, v0
	v_mov_b32_e32 v1, 7
	v_lshrrev_b16 v14, 2, v0
	v_mul_lo_u16 v0, v14, 7
	v_sub_nc_u16 v15, v32, v0
	v_lshlrev_b32_sdwa v4, v1, v15 dst_sel:DWORD dst_unused:UNUSED_PAD src0_sel:DWORD src1_sel:BYTE_0
	s_clause 0x7
	global_load_dwordx4 v[0:3], v4, s[12:13]
	global_load_dwordx4 v[6:9], v4, s[12:13] offset:112
	global_load_dwordx4 v[16:19], v4, s[12:13] offset:48
	;; [unrolled: 1-line block ×7, first 2 shown]
	ds_read_b128 v[48:51], v13
	ds_read_b128 v[52:55], v33 offset:8064
	ds_read_b128 v[56:59], v33 offset:4032
	;; [unrolled: 1-line block ×6, first 2 shown]
	s_waitcnt vmcnt(7) lgkmcnt(6)
	v_mul_f64 v[4:5], v[50:51], v[2:3]
	s_waitcnt vmcnt(6) lgkmcnt(5)
	v_mul_f64 v[10:11], v[54:55], v[8:9]
	s_waitcnt vmcnt(5) lgkmcnt(4)
	v_mul_f64 v[76:77], v[58:59], v[18:19]
	s_waitcnt vmcnt(4) lgkmcnt(3)
	v_mul_f64 v[78:79], v[62:63], v[22:23]
	s_waitcnt vmcnt(3) lgkmcnt(2)
	v_mul_f64 v[80:81], v[66:67], v[26:27]
	s_waitcnt vmcnt(2) lgkmcnt(1)
	v_mul_f64 v[82:83], v[70:71], v[38:39]
	v_mul_f64 v[2:3], v[48:49], v[2:3]
	v_mul_f64 v[84:85], v[52:53], v[8:9]
	;; [unrolled: 1-line block ×6, first 2 shown]
	v_fma_f64 v[86:87], v[48:49], v[0:1], -v[4:5]
	v_fma_f64 v[52:53], v[52:53], v[6:7], -v[10:11]
	;; [unrolled: 1-line block ×6, first 2 shown]
	v_fma_f64 v[88:89], v[50:51], v[0:1], v[2:3]
	ds_read_b128 v[48:51], v33 offset:3024
	ds_read_b128 v[0:3], v33
	v_fma_f64 v[54:55], v[54:55], v[6:7], v[84:85]
	v_fma_f64 v[10:11], v[58:59], v[16:17], v[18:19]
	;; [unrolled: 1-line block ×5, first 2 shown]
	s_waitcnt vmcnt(0) lgkmcnt(2)
	v_mul_f64 v[24:25], v[74:75], v[46:47]
	v_mul_f64 v[26:27], v[72:73], v[46:47]
	s_waitcnt lgkmcnt(0)
	s_barrier
	buffer_gl0_inv
	v_add_f64 v[35:36], v[86:87], v[52:53]
	v_add_f64 v[46:47], v[86:87], -v[52:53]
	v_add_f64 v[37:38], v[8:9], v[4:5]
	v_add_f64 v[62:63], v[8:9], -v[4:5]
	v_mul_f64 v[20:21], v[50:51], v[42:43]
	v_mul_f64 v[22:23], v[48:49], v[42:43]
	v_add_f64 v[42:43], v[56:57], v[60:61]
	v_add_f64 v[52:53], v[88:89], -v[54:55]
	v_add_f64 v[54:55], v[88:89], v[54:55]
	v_add_f64 v[58:59], v[10:11], v[6:7]
	v_add_f64 v[64:65], v[10:11], -v[6:7]
	v_add_f64 v[66:67], v[16:17], v[18:19]
	v_fma_f64 v[24:25], v[72:73], v[44:45], -v[24:25]
	v_fma_f64 v[26:27], v[74:75], v[44:45], v[26:27]
	v_add_f64 v[16:17], v[16:17], -v[18:19]
	v_fma_f64 v[44:45], v[35:36], s[8:9], v[0:1]
	v_mul_f64 v[18:19], v[46:47], s[0:1]
	v_mul_f64 v[70:71], v[62:63], s[14:15]
	v_fma_f64 v[20:21], v[48:49], v[40:41], -v[20:21]
	v_fma_f64 v[22:23], v[50:51], v[40:41], v[22:23]
	v_fma_f64 v[48:49], v[37:38], s[8:9], v[0:1]
	;; [unrolled: 1-line block ×3, first 2 shown]
	v_add_f64 v[39:40], v[56:57], -v[60:61]
	v_mul_f64 v[56:57], v[52:53], s[0:1]
	v_fma_f64 v[60:61], v[54:55], s[8:9], v[2:3]
	s_mov_b32 s1, 0xbfe491b7
	v_fma_f64 v[68:69], v[58:59], s[8:9], v[2:3]
	v_mul_f64 v[72:73], v[64:65], s[14:15]
	v_fma_f64 v[74:75], v[66:67], s[8:9], v[2:3]
	v_mul_f64 v[76:77], v[62:63], s[0:1]
	v_mul_f64 v[78:79], v[64:65], s[0:1]
	v_add_f64 v[84:85], v[42:43], v[35:36]
	v_add_f64 v[86:87], v[66:67], v[54:55]
	s_mov_b32 s9, 0xbfebb67a
	s_mov_b32 s8, s6
	v_and_b32_e32 v41, 0xff, v96
	v_fma_f64 v[44:45], v[42:43], s[16:17], v[44:45]
	v_add_f64 v[80:81], v[20:21], v[24:25]
	v_add_f64 v[82:83], v[22:23], v[26:27]
	v_fma_f64 v[48:49], v[35:36], s[16:17], v[48:49]
	v_fma_f64 v[50:51], v[37:38], s[16:17], v[50:51]
	v_add_f64 v[20:21], v[20:21], -v[24:25]
	v_add_f64 v[22:23], v[22:23], -v[26:27]
	v_fma_f64 v[18:19], v[39:40], s[14:15], v[18:19]
	v_fma_f64 v[24:25], v[16:17], s[14:15], v[56:57]
	;; [unrolled: 1-line block ×4, first 2 shown]
	v_fma_f64 v[68:69], v[39:40], s[0:1], -v[70:71]
	v_fma_f64 v[70:71], v[16:17], s[0:1], -v[72:73]
	v_fma_f64 v[72:73], v[58:59], s[16:17], v[74:75]
	v_fma_f64 v[74:75], v[46:47], s[14:15], v[76:77]
	v_fma_f64 v[76:77], v[52:53], s[14:15], v[78:79]
	v_add_f64 v[56:57], v[62:63], v[46:47]
	v_add_f64 v[78:79], v[64:65], v[52:53]
	;; [unrolled: 1-line block ×3, first 2 shown]
	v_mul_lo_u16 v41, v41, 5
	s_mov_b32 s0, 0x748a0bf8
	s_mov_b32 s14, 0x42522d1b
	;; [unrolled: 1-line block ×3, first 2 shown]
	v_add_f64 v[88:89], v[0:1], v[80:81]
	v_add_f64 v[92:93], v[80:81], v[84:85]
	v_fma_f64 v[44:45], v[80:81], -0.5, v[44:45]
	v_fma_f64 v[48:49], v[80:81], -0.5, v[48:49]
	;; [unrolled: 1-line block ×3, first 2 shown]
	v_add_f64 v[80:81], v[82:83], v[86:87]
	v_add_f64 v[90:91], v[2:3], v[82:83]
	;; [unrolled: 1-line block ×3, first 2 shown]
	v_fma_f64 v[18:19], v[20:21], s[6:7], v[18:19]
	v_fma_f64 v[24:25], v[22:23], s[6:7], v[24:25]
	v_fma_f64 v[26:27], v[82:83], -0.5, v[26:27]
	v_fma_f64 v[68:69], v[20:21], s[6:7], v[68:69]
	v_fma_f64 v[70:71], v[22:23], s[6:7], v[70:71]
	v_fma_f64 v[72:73], v[82:83], -0.5, v[72:73]
	v_fma_f64 v[60:61], v[82:83], -0.5, v[60:61]
	v_fma_f64 v[20:21], v[20:21], s[8:9], v[74:75]
	v_fma_f64 v[22:23], v[22:23], s[8:9], v[76:77]
	s_mov_b32 s15, 0xbfee11f6
	v_add_f64 v[56:57], v[56:57], -v[39:40]
	v_add_f64 v[74:75], v[78:79], -v[16:17]
	v_lshrrev_b16 v86, 8, v41
	v_add_f64 v[82:83], v[8:9], v[92:93]
	v_sub_nc_u16 v8, v96, v86
	v_fma_f64 v[35:36], v[35:36], s[14:15], v[50:51]
	v_add_f64 v[10:11], v[10:11], v[80:81]
	v_fma_f64 v[78:79], v[94:95], -0.5, v[90:91]
	v_fma_f64 v[76:77], v[84:85], -0.5, v[88:89]
	v_fma_f64 v[62:63], v[62:63], s[0:1], v[18:19]
	v_fma_f64 v[64:65], v[64:65], s[0:1], v[24:25]
	;; [unrolled: 1-line block ×11, first 2 shown]
	v_lshrrev_b16 v55, 1, v8
	v_mul_f64 v[39:40], v[56:57], s[6:7]
	v_mul_f64 v[51:52], v[74:75], s[6:7]
	v_lshlrev_b32_e32 v60, 1, v32
	v_add_f64 v[53:54], v[4:5], v[82:83]
	v_mov_b32_e32 v61, 0
	v_mov_b32_e32 v66, 4
	v_add_f64 v[58:59], v[6:7], v[10:11]
	v_fma_f64 v[10:11], v[56:57], s[8:9], v[78:79]
	v_fma_f64 v[8:9], v[74:75], s[6:7], v[76:77]
	v_mov_b32_e32 v57, 0x3f0
	s_mov_b32 s6, 0xe8584caa
	v_add_f64 v[4:5], v[64:65], v[18:19]
	v_add_f64 v[6:7], v[24:25], -v[62:63]
	v_and_b32_e32 v24, 0x7f, v55
	v_lshlrev_b64 v[55:56], 4, v[60:61]
	v_add_f64 v[16:17], v[43:44], v[35:36]
	v_add_f64 v[18:19], v[41:42], -v[45:46]
	s_mov_b32 s8, s6
	v_add_f64 v[20:21], v[47:48], v[26:27]
	v_add_f64 v[22:23], v[37:38], -v[49:50]
	v_add_nc_u16 v24, v24, v86
	v_add_f64 v[35:36], v[0:1], v[53:54]
	v_lshrrev_b16 v60, 5, v24
	v_mul_u32_u24_sdwa v0, v14, v57 dst_sel:DWORD dst_unused:UNUSED_PAD src0_sel:WORD_0 src1_sel:DWORD
	v_add_f64 v[37:38], v[2:3], v[58:59]
	v_fma_f64 v[26:27], v[39:40], 2.0, v[10:11]
	v_fma_f64 v[24:25], v[51:52], -2.0, v[8:9]
	v_mul_lo_u16 v1, v60, 63
	v_lshlrev_b32_sdwa v2, v66, v15 dst_sel:DWORD dst_unused:UNUSED_PAD src0_sel:DWORD src1_sel:BYTE_0
	v_fma_f64 v[39:40], v[64:65], -2.0, v[4:5]
	v_fma_f64 v[41:42], v[62:63], 2.0, v[6:7]
	v_add_co_u32 v62, s0, s12, v55
	v_fma_f64 v[43:44], v[43:44], -2.0, v[16:17]
	v_fma_f64 v[45:46], v[45:46], 2.0, v[18:19]
	v_sub_nc_u16 v1, v96, v1
	v_fma_f64 v[47:48], v[47:48], -2.0, v[20:21]
	v_fma_f64 v[49:50], v[49:50], 2.0, v[22:23]
	v_add_co_ci_u32_e64 v63, s0, s13, v56, s0
	v_add3_u32 v2, 0, v0, v2
	v_and_b32_e32 v0, 0xff, v1
	ds_write_b128 v2, v[8:11] offset:336
	ds_write_b128 v2, v[35:38]
	ds_write_b128 v2, v[4:7] offset:112
	ds_write_b128 v2, v[16:19] offset:448
	ds_write_b128 v2, v[24:27] offset:672
	ds_write_b128 v2, v[20:23] offset:224
	ds_write_b128 v2, v[43:46] offset:560
	ds_write_b128 v2, v[39:42] offset:896
	ds_write_b128 v2, v[47:50] offset:784
	s_waitcnt lgkmcnt(0)
	s_barrier
	buffer_gl0_inv
	s_clause 0x1
	global_load_dwordx4 v[1:4], v[62:63], off offset:896
	global_load_dwordx4 v[5:8], v[62:63], off offset:912
	v_lshlrev_b32_e32 v9, 5, v0
	s_clause 0x1
	global_load_dwordx4 v[14:17], v9, s[12:13] offset:896
	global_load_dwordx4 v[18:21], v9, s[12:13] offset:912
	ds_read_b128 v[22:25], v33 offset:3024
	ds_read_b128 v[35:38], v33 offset:6048
	;; [unrolled: 1-line block ×6, first 2 shown]
	ds_read_b128 v[55:58], v33
	v_lshl_add_u32 v0, v0, 4, 0
	s_waitcnt vmcnt(3) lgkmcnt(6)
	v_mul_f64 v[26:27], v[24:25], v[3:4]
	v_mul_f64 v[59:60], v[22:23], v[3:4]
	s_waitcnt vmcnt(2) lgkmcnt(5)
	v_mul_f64 v[64:65], v[37:38], v[7:8]
	v_mul_f64 v[66:67], v[35:36], v[7:8]
	s_waitcnt lgkmcnt(4)
	v_mul_f64 v[68:69], v[41:42], v[3:4]
	v_mul_f64 v[3:4], v[39:40], v[3:4]
	s_waitcnt lgkmcnt(3)
	v_mul_f64 v[70:71], v[45:46], v[7:8]
	v_mul_f64 v[72:73], v[43:44], v[7:8]
	s_waitcnt vmcnt(1) lgkmcnt(2)
	v_mul_f64 v[74:75], v[49:50], v[16:17]
	v_mul_f64 v[16:17], v[47:48], v[16:17]
	s_waitcnt vmcnt(0) lgkmcnt(1)
	v_mul_f64 v[76:77], v[53:54], v[20:21]
	v_mul_f64 v[20:21], v[51:52], v[20:21]
	ds_read_b128 v[7:10], v13
	v_fma_f64 v[22:23], v[22:23], v[1:2], -v[26:27]
	v_fma_f64 v[24:25], v[24:25], v[1:2], v[59:60]
	v_fma_f64 v[26:27], v[35:36], v[5:6], -v[64:65]
	v_fma_f64 v[35:36], v[37:38], v[5:6], v[66:67]
	v_fma_f64 v[37:38], v[39:40], v[1:2], -v[68:69]
	v_fma_f64 v[39:40], v[41:42], v[1:2], v[3:4]
	ds_read_b128 v[1:4], v12 offset:2016
	v_fma_f64 v[41:42], v[43:44], v[5:6], -v[70:71]
	v_fma_f64 v[43:44], v[45:46], v[5:6], v[72:73]
	v_fma_f64 v[5:6], v[47:48], v[14:15], -v[74:75]
	v_fma_f64 v[14:15], v[49:50], v[14:15], v[16:17]
	;; [unrolled: 2-line block ×3, first 2 shown]
	v_lshlrev_b32_e32 v60, 1, v34
	v_add_co_u32 v52, s0, 0xb60, v62
	v_add_co_ci_u32_e64 v53, s0, 0, v63, s0
	v_lshlrev_b64 v[20:21], 4, v[60:61]
	v_lshlrev_b32_e32 v60, 1, v96
	s_waitcnt lgkmcnt(0)
	s_barrier
	buffer_gl0_inv
	v_add_f64 v[45:46], v[22:23], v[26:27]
	v_add_f64 v[47:48], v[24:25], v[35:36]
	v_lshlrev_b64 v[50:51], 4, v[60:61]
	v_add_co_u32 v61, s0, 0x800, v62
	v_add_f64 v[59:60], v[37:38], v[41:42]
	v_add_f64 v[64:65], v[39:40], v[43:44]
	v_add_co_ci_u32_e64 v62, s0, 0, v63, s0
	v_add_f64 v[66:67], v[5:6], v[16:17]
	v_add_f64 v[68:69], v[14:15], v[18:19]
	v_add_co_u32 v11, s0, s12, v20
	v_add_co_ci_u32_e64 v84, s0, s13, v21, s0
	v_add_f64 v[20:21], v[55:56], v[22:23]
	v_add_f64 v[70:71], v[24:25], -v[35:36]
	v_add_f64 v[24:25], v[57:58], v[24:25]
	v_add_f64 v[72:73], v[7:8], v[37:38]
	;; [unrolled: 1-line block ×5, first 2 shown]
	v_fma_f64 v[45:46], v[45:46], -0.5, v[55:56]
	v_add_f64 v[54:55], v[22:23], -v[26:27]
	v_fma_f64 v[47:48], v[47:48], -0.5, v[57:58]
	v_add_f64 v[39:40], v[39:40], -v[43:44]
	v_add_f64 v[80:81], v[5:6], -v[16:17]
	v_fma_f64 v[56:57], v[59:60], -0.5, v[7:8]
	v_add_f64 v[58:59], v[37:38], -v[41:42]
	v_fma_f64 v[9:10], v[64:65], -0.5, v[9:10]
	;; [unrolled: 2-line block ×3, first 2 shown]
	v_fma_f64 v[67:68], v[68:69], -0.5, v[3:4]
	v_add_co_u32 v82, s0, 0xb60, v11
	v_add_co_ci_u32_e64 v83, s0, 0, v84, s0
	v_add_f64 v[1:2], v[20:21], v[26:27]
	v_add_co_u32 v50, s0, s12, v50
	v_add_f64 v[3:4], v[24:25], v[35:36]
	v_add_f64 v[5:6], v[72:73], v[41:42]
	;; [unrolled: 1-line block ×5, first 2 shown]
	v_fma_f64 v[18:19], v[70:71], s[6:7], v[45:46]
	v_fma_f64 v[20:21], v[54:55], s[8:9], v[47:48]
	;; [unrolled: 1-line block ×12, first 2 shown]
	v_add_co_ci_u32_e64 v51, s0, s13, v51, s0
	v_add_co_u32 v9, s0, 0x800, v11
	v_add_co_ci_u32_e64 v10, s0, 0, v84, s0
	v_add_co_u32 v26, s0, 0xb60, v50
	v_add_co_ci_u32_e64 v27, s0, 0, v51, s0
	ds_write_b128 v33, v[1:4]
	ds_write_b128 v33, v[5:8] offset:3024
	ds_write_b128 v33, v[18:21] offset:1008
	;; [unrolled: 1-line block ×8, first 2 shown]
	s_waitcnt lgkmcnt(0)
	s_barrier
	buffer_gl0_inv
	s_clause 0x1
	global_load_dwordx4 v[0:3], v[61:62], off offset:864
	global_load_dwordx4 v[4:7], v[52:53], off offset:16
	v_add_co_u32 v18, s0, 0x800, v50
	v_add_co_ci_u32_e64 v19, s0, 0, v51, s0
	s_clause 0x3
	global_load_dwordx4 v[8:11], v[9:10], off offset:864
	global_load_dwordx4 v[14:17], v[82:83], off offset:16
	;; [unrolled: 1-line block ×4, first 2 shown]
	ds_read_b128 v[34:37], v33 offset:3024
	ds_read_b128 v[38:41], v33 offset:6048
	;; [unrolled: 1-line block ×6, first 2 shown]
	ds_read_b128 v[58:61], v33
	ds_read_b128 v[62:65], v13
	s_waitcnt vmcnt(5) lgkmcnt(7)
	v_mul_f64 v[26:27], v[36:37], v[2:3]
	s_waitcnt vmcnt(4) lgkmcnt(6)
	v_mul_f64 v[66:67], v[40:41], v[6:7]
	v_mul_f64 v[2:3], v[34:35], v[2:3]
	v_mul_f64 v[6:7], v[38:39], v[6:7]
	s_waitcnt vmcnt(3) lgkmcnt(5)
	v_mul_f64 v[68:69], v[44:45], v[10:11]
	s_waitcnt vmcnt(2) lgkmcnt(4)
	v_mul_f64 v[70:71], v[48:49], v[16:17]
	v_mul_f64 v[10:11], v[42:43], v[10:11]
	v_mul_f64 v[16:17], v[46:47], v[16:17]
	;; [unrolled: 6-line block ×3, first 2 shown]
	v_fma_f64 v[26:27], v[34:35], v[0:1], -v[26:27]
	v_fma_f64 v[34:35], v[38:39], v[4:5], -v[66:67]
	v_fma_f64 v[36:37], v[36:37], v[0:1], v[2:3]
	v_fma_f64 v[4:5], v[40:41], v[4:5], v[6:7]
	v_fma_f64 v[6:7], v[42:43], v[8:9], -v[68:69]
	v_fma_f64 v[38:39], v[46:47], v[14:15], -v[70:71]
	v_fma_f64 v[8:9], v[44:45], v[8:9], v[10:11]
	v_fma_f64 v[10:11], v[48:49], v[14:15], v[16:17]
	v_fma_f64 v[14:15], v[50:51], v[18:19], -v[72:73]
	v_fma_f64 v[16:17], v[54:55], v[22:23], -v[74:75]
	v_fma_f64 v[18:19], v[52:53], v[18:19], v[20:21]
	v_fma_f64 v[20:21], v[56:57], v[22:23], v[24:25]
	ds_read_b128 v[0:3], v12 offset:2016
	s_waitcnt lgkmcnt(0)
	s_barrier
	buffer_gl0_inv
	v_add_f64 v[48:49], v[58:59], v[26:27]
	v_add_f64 v[22:23], v[26:27], v[34:35]
	v_add_f64 v[26:27], v[26:27], -v[34:35]
	v_add_f64 v[24:25], v[36:37], v[4:5]
	v_add_f64 v[50:51], v[36:37], -v[4:5]
	v_add_f64 v[40:41], v[6:7], v[38:39]
	v_add_f64 v[36:37], v[60:61], v[36:37]
	;; [unrolled: 1-line block ×9, first 2 shown]
	v_fma_f64 v[22:23], v[22:23], -0.5, v[58:59]
	v_add_f64 v[58:59], v[8:9], -v[10:11]
	v_fma_f64 v[24:25], v[24:25], -0.5, v[60:61]
	v_add_f64 v[60:61], v[6:7], -v[38:39]
	;; [unrolled: 2-line block ×4, first 2 shown]
	v_fma_f64 v[44:45], v[44:45], -0.5, v[0:1]
	v_add_f64 v[0:1], v[48:49], v[34:35]
	v_fma_f64 v[46:47], v[46:47], -0.5, v[2:3]
	v_add_f64 v[2:3], v[36:37], v[4:5]
	v_add_f64 v[8:9], v[56:57], v[16:17]
	;; [unrolled: 1-line block ×5, first 2 shown]
	v_fma_f64 v[14:15], v[50:51], s[6:7], v[22:23]
	v_fma_f64 v[18:19], v[50:51], s[8:9], v[22:23]
	;; [unrolled: 1-line block ×12, first 2 shown]
	ds_write_b128 v33, v[0:3]
	ds_write_b128 v33, v[14:17] offset:3024
	ds_write_b128 v33, v[18:21] offset:6048
	ds_write_b128 v13, v[4:7]
	ds_write_b128 v13, v[22:25] offset:3024
	ds_write_b128 v13, v[34:37] offset:6048
	ds_write_b128 v12, v[8:11] offset:2016
	ds_write_b128 v12, v[38:41] offset:5040
	ds_write_b128 v12, v[42:45] offset:8064
	s_waitcnt lgkmcnt(0)
	s_barrier
	buffer_gl0_inv
	s_and_saveexec_b32 s0, vcc_lo
	s_cbranch_execz .LBB0_17
; %bb.16:
	v_mul_lo_u32 v4, s5, v30
	v_mul_lo_u32 v5, s4, v31
	v_mad_u64_u32 v[0:1], null, s4, v30, 0
	v_add_nc_u32_e32 v6, 63, v32
	v_mad_u64_u32 v[2:3], null, s2, v32, 0
	v_add_nc_u32_e32 v7, 0x7e, v32
	v_add_nc_u32_e32 v13, 0xbd, v32
	v_mad_u64_u32 v[8:9], null, s2, v6, 0
	v_add3_u32 v1, v1, v5, v4
	v_mad_u64_u32 v[10:11], null, s2, v7, 0
	v_mad_u64_u32 v[3:4], null, s3, v32, v[3:4]
	v_lshlrev_b64 v[0:1], 4, v[0:1]
	v_mov_b32_e32 v4, v9
	v_mad_u64_u32 v[16:17], null, s2, v13, 0
	v_add_nc_u32_e32 v26, 0xfc, v32
	v_lshl_add_u32 v30, v32, 4, 0
	v_add_co_u32 v9, vcc_lo, s10, v0
	v_add_co_ci_u32_e32 v12, vcc_lo, s11, v1, vcc_lo
	v_lshlrev_b64 v[0:1], 4, v[28:29]
	v_mad_u64_u32 v[4:5], null, s3, v6, v[4:5]
	v_mad_u64_u32 v[20:21], null, s2, v26, 0
	v_add_nc_u32_e32 v29, 0x13b, v32
	v_add_co_u32 v31, vcc_lo, v9, v0
	v_add_co_ci_u32_e32 v33, vcc_lo, v12, v1, vcc_lo
	v_lshlrev_b64 v[0:1], 4, v[2:3]
	v_mov_b32_e32 v2, v11
	v_mov_b32_e32 v9, v4
	v_mad_u64_u32 v[11:12], null, s3, v7, v[2:3]
	v_mov_b32_e32 v12, v17
	v_lshlrev_b64 v[8:9], 4, v[8:9]
	v_add_co_u32 v18, vcc_lo, v31, v0
	v_add_co_ci_u32_e32 v19, vcc_lo, v33, v1, vcc_lo
	v_mad_u64_u32 v[12:13], null, s3, v13, v[12:13]
	v_add_co_u32 v22, vcc_lo, v31, v8
	ds_read_b128 v[0:3], v30
	ds_read_b128 v[4:7], v30 offset:1008
	v_add_co_ci_u32_e32 v23, vcc_lo, v33, v9, vcc_lo
	v_lshlrev_b64 v[24:25], 4, v[10:11]
	v_mov_b32_e32 v17, v12
	ds_read_b128 v[8:11], v30 offset:2016
	ds_read_b128 v[12:15], v30 offset:3024
	v_mad_u64_u32 v[26:27], null, s3, v26, v[21:22]
	v_mad_u64_u32 v[27:28], null, s2, v29, 0
	v_lshlrev_b64 v[16:17], 4, v[16:17]
	v_add_co_u32 v24, vcc_lo, v31, v24
	v_add_co_ci_u32_e32 v25, vcc_lo, v33, v25, vcc_lo
	v_mov_b32_e32 v21, v26
	v_add_co_u32 v16, vcc_lo, v31, v16
	v_add_co_ci_u32_e32 v17, vcc_lo, v33, v17, vcc_lo
	s_waitcnt lgkmcnt(3)
	global_store_dwordx4 v[18:19], v[0:3], off
	v_lshlrev_b64 v[1:2], 4, v[20:21]
	s_waitcnt lgkmcnt(2)
	global_store_dwordx4 v[22:23], v[4:7], off
	s_waitcnt lgkmcnt(1)
	global_store_dwordx4 v[24:25], v[8:11], off
	;; [unrolled: 2-line block ×3, first 2 shown]
	v_mov_b32_e32 v0, v28
	v_add_nc_u32_e32 v5, 0x17a, v32
	v_add_nc_u32_e32 v14, 0x1b9, v32
	;; [unrolled: 1-line block ×3, first 2 shown]
	v_add_co_u32 v22, vcc_lo, v31, v1
	v_mad_u64_u32 v[3:4], null, s3, v29, v[0:1]
	v_mad_u64_u32 v[8:9], null, s2, v5, 0
	;; [unrolled: 1-line block ×4, first 2 shown]
	v_mov_b32_e32 v28, v3
	v_add_co_ci_u32_e32 v23, vcc_lo, v33, v2, vcc_lo
	v_mov_b32_e32 v0, v9
	v_lshlrev_b64 v[11:12], 4, v[27:28]
	v_mov_b32_e32 v13, v25
	v_mad_u64_u32 v[9:10], null, s3, v5, v[0:1]
	v_mov_b32_e32 v10, v21
	ds_read_b128 v[0:3], v30 offset:4032
	ds_read_b128 v[4:7], v30 offset:5040
	v_mad_u64_u32 v[14:15], null, s3, v14, v[10:11]
	v_lshlrev_b64 v[28:29], 4, v[8:9]
	v_mad_u64_u32 v[25:26], null, s3, v16, v[13:14]
	v_add_co_u32 v26, vcc_lo, v31, v11
	v_add_co_ci_u32_e32 v27, vcc_lo, v33, v12, vcc_lo
	v_mov_b32_e32 v21, v14
	ds_read_b128 v[8:11], v30 offset:6048
	ds_read_b128 v[12:15], v30 offset:7056
	;; [unrolled: 1-line block ×3, first 2 shown]
	v_add_co_u32 v28, vcc_lo, v31, v28
	v_lshlrev_b64 v[24:25], 4, v[24:25]
	v_lshlrev_b64 v[20:21], 4, v[20:21]
	v_add_co_ci_u32_e32 v29, vcc_lo, v33, v29, vcc_lo
	v_add_co_u32 v20, vcc_lo, v31, v20
	v_add_co_ci_u32_e32 v21, vcc_lo, v33, v21, vcc_lo
	v_add_co_u32 v24, vcc_lo, v31, v24
	v_add_co_ci_u32_e32 v25, vcc_lo, v33, v25, vcc_lo
	s_waitcnt lgkmcnt(4)
	global_store_dwordx4 v[22:23], v[0:3], off
	s_waitcnt lgkmcnt(3)
	global_store_dwordx4 v[26:27], v[4:7], off
	;; [unrolled: 2-line block ×5, first 2 shown]
.LBB0_17:
	s_endpgm
	.section	.rodata,"a",@progbits
	.p2align	6, 0x0
	.amdhsa_kernel fft_rtc_fwd_len567_factors_7_9_3_3_wgs_63_tpt_63_dp_op_CI_CI_sbrr_dirReg
		.amdhsa_group_segment_fixed_size 0
		.amdhsa_private_segment_fixed_size 0
		.amdhsa_kernarg_size 104
		.amdhsa_user_sgpr_count 6
		.amdhsa_user_sgpr_private_segment_buffer 1
		.amdhsa_user_sgpr_dispatch_ptr 0
		.amdhsa_user_sgpr_queue_ptr 0
		.amdhsa_user_sgpr_kernarg_segment_ptr 1
		.amdhsa_user_sgpr_dispatch_id 0
		.amdhsa_user_sgpr_flat_scratch_init 0
		.amdhsa_user_sgpr_private_segment_size 0
		.amdhsa_wavefront_size32 1
		.amdhsa_uses_dynamic_stack 0
		.amdhsa_system_sgpr_private_segment_wavefront_offset 0
		.amdhsa_system_sgpr_workgroup_id_x 1
		.amdhsa_system_sgpr_workgroup_id_y 0
		.amdhsa_system_sgpr_workgroup_id_z 0
		.amdhsa_system_sgpr_workgroup_info 0
		.amdhsa_system_vgpr_workitem_id 0
		.amdhsa_next_free_vgpr 97
		.amdhsa_next_free_sgpr 31
		.amdhsa_reserve_vcc 1
		.amdhsa_reserve_flat_scratch 0
		.amdhsa_float_round_mode_32 0
		.amdhsa_float_round_mode_16_64 0
		.amdhsa_float_denorm_mode_32 3
		.amdhsa_float_denorm_mode_16_64 3
		.amdhsa_dx10_clamp 1
		.amdhsa_ieee_mode 1
		.amdhsa_fp16_overflow 0
		.amdhsa_workgroup_processor_mode 1
		.amdhsa_memory_ordered 1
		.amdhsa_forward_progress 0
		.amdhsa_shared_vgpr_count 0
		.amdhsa_exception_fp_ieee_invalid_op 0
		.amdhsa_exception_fp_denorm_src 0
		.amdhsa_exception_fp_ieee_div_zero 0
		.amdhsa_exception_fp_ieee_overflow 0
		.amdhsa_exception_fp_ieee_underflow 0
		.amdhsa_exception_fp_ieee_inexact 0
		.amdhsa_exception_int_div_zero 0
	.end_amdhsa_kernel
	.text
.Lfunc_end0:
	.size	fft_rtc_fwd_len567_factors_7_9_3_3_wgs_63_tpt_63_dp_op_CI_CI_sbrr_dirReg, .Lfunc_end0-fft_rtc_fwd_len567_factors_7_9_3_3_wgs_63_tpt_63_dp_op_CI_CI_sbrr_dirReg
                                        ; -- End function
	.section	.AMDGPU.csdata,"",@progbits
; Kernel info:
; codeLenInByte = 7980
; NumSgprs: 33
; NumVgprs: 97
; ScratchSize: 0
; MemoryBound: 0
; FloatMode: 240
; IeeeMode: 1
; LDSByteSize: 0 bytes/workgroup (compile time only)
; SGPRBlocks: 4
; VGPRBlocks: 12
; NumSGPRsForWavesPerEU: 33
; NumVGPRsForWavesPerEU: 97
; Occupancy: 9
; WaveLimiterHint : 1
; COMPUTE_PGM_RSRC2:SCRATCH_EN: 0
; COMPUTE_PGM_RSRC2:USER_SGPR: 6
; COMPUTE_PGM_RSRC2:TRAP_HANDLER: 0
; COMPUTE_PGM_RSRC2:TGID_X_EN: 1
; COMPUTE_PGM_RSRC2:TGID_Y_EN: 0
; COMPUTE_PGM_RSRC2:TGID_Z_EN: 0
; COMPUTE_PGM_RSRC2:TIDIG_COMP_CNT: 0
	.text
	.p2alignl 6, 3214868480
	.fill 48, 4, 3214868480
	.type	__hip_cuid_ab55d687380bda41,@object ; @__hip_cuid_ab55d687380bda41
	.section	.bss,"aw",@nobits
	.globl	__hip_cuid_ab55d687380bda41
__hip_cuid_ab55d687380bda41:
	.byte	0                               ; 0x0
	.size	__hip_cuid_ab55d687380bda41, 1

	.ident	"AMD clang version 19.0.0git (https://github.com/RadeonOpenCompute/llvm-project roc-6.4.0 25133 c7fe45cf4b819c5991fe208aaa96edf142730f1d)"
	.section	".note.GNU-stack","",@progbits
	.addrsig
	.addrsig_sym __hip_cuid_ab55d687380bda41
	.amdgpu_metadata
---
amdhsa.kernels:
  - .args:
      - .actual_access:  read_only
        .address_space:  global
        .offset:         0
        .size:           8
        .value_kind:     global_buffer
      - .offset:         8
        .size:           8
        .value_kind:     by_value
      - .actual_access:  read_only
        .address_space:  global
        .offset:         16
        .size:           8
        .value_kind:     global_buffer
      - .actual_access:  read_only
        .address_space:  global
        .offset:         24
        .size:           8
        .value_kind:     global_buffer
      - .actual_access:  read_only
        .address_space:  global
        .offset:         32
        .size:           8
        .value_kind:     global_buffer
      - .offset:         40
        .size:           8
        .value_kind:     by_value
      - .actual_access:  read_only
        .address_space:  global
        .offset:         48
        .size:           8
        .value_kind:     global_buffer
      - .actual_access:  read_only
        .address_space:  global
        .offset:         56
        .size:           8
        .value_kind:     global_buffer
      - .offset:         64
        .size:           4
        .value_kind:     by_value
      - .actual_access:  read_only
        .address_space:  global
        .offset:         72
        .size:           8
        .value_kind:     global_buffer
      - .actual_access:  read_only
        .address_space:  global
        .offset:         80
        .size:           8
        .value_kind:     global_buffer
      - .actual_access:  read_only
        .address_space:  global
        .offset:         88
        .size:           8
        .value_kind:     global_buffer
      - .actual_access:  write_only
        .address_space:  global
        .offset:         96
        .size:           8
        .value_kind:     global_buffer
    .group_segment_fixed_size: 0
    .kernarg_segment_align: 8
    .kernarg_segment_size: 104
    .language:       OpenCL C
    .language_version:
      - 2
      - 0
    .max_flat_workgroup_size: 63
    .name:           fft_rtc_fwd_len567_factors_7_9_3_3_wgs_63_tpt_63_dp_op_CI_CI_sbrr_dirReg
    .private_segment_fixed_size: 0
    .sgpr_count:     33
    .sgpr_spill_count: 0
    .symbol:         fft_rtc_fwd_len567_factors_7_9_3_3_wgs_63_tpt_63_dp_op_CI_CI_sbrr_dirReg.kd
    .uniform_work_group_size: 1
    .uses_dynamic_stack: false
    .vgpr_count:     97
    .vgpr_spill_count: 0
    .wavefront_size: 32
    .workgroup_processor_mode: 1
amdhsa.target:   amdgcn-amd-amdhsa--gfx1030
amdhsa.version:
  - 1
  - 2
...

	.end_amdgpu_metadata
